;; amdgpu-corpus repo=ROCm/rocFFT kind=compiled arch=gfx906 opt=O3
	.text
	.amdgcn_target "amdgcn-amd-amdhsa--gfx906"
	.amdhsa_code_object_version 6
	.protected	fft_rtc_fwd_len104_factors_13_8_wgs_208_tpt_13_sp_ip_CI_sbcc_twdbase8_3step_dirReg_intrinsicRead ; -- Begin function fft_rtc_fwd_len104_factors_13_8_wgs_208_tpt_13_sp_ip_CI_sbcc_twdbase8_3step_dirReg_intrinsicRead
	.globl	fft_rtc_fwd_len104_factors_13_8_wgs_208_tpt_13_sp_ip_CI_sbcc_twdbase8_3step_dirReg_intrinsicRead
	.p2align	8
	.type	fft_rtc_fwd_len104_factors_13_8_wgs_208_tpt_13_sp_ip_CI_sbcc_twdbase8_3step_dirReg_intrinsicRead,@function
fft_rtc_fwd_len104_factors_13_8_wgs_208_tpt_13_sp_ip_CI_sbcc_twdbase8_3step_dirReg_intrinsicRead: ; @fft_rtc_fwd_len104_factors_13_8_wgs_208_tpt_13_sp_ip_CI_sbcc_twdbase8_3step_dirReg_intrinsicRead
; %bb.0:
	s_load_dwordx4 s[0:3], s[4:5], 0x18
	s_mov_b32 s7, 0
	s_mov_b64 s[24:25], 0
	s_waitcnt lgkmcnt(0)
	s_load_dwordx2 s[14:15], s[0:1], 0x8
	s_waitcnt lgkmcnt(0)
	s_add_u32 s8, s14, -1
	s_addc_u32 s9, s15, -1
	s_lshr_b64 s[8:9], s[8:9], 4
	s_add_u32 s22, s8, 1
	s_addc_u32 s23, s9, 0
	v_mov_b32_e32 v1, s22
	v_mov_b32_e32 v2, s23
	v_cmp_lt_u64_e32 vcc, s[6:7], v[1:2]
	s_cbranch_vccnz .LBB0_2
; %bb.1:
	v_cvt_f32_u32_e32 v1, s22
	s_sub_i32 s8, 0, s22
	s_mov_b32 s25, s7
	v_rcp_iflag_f32_e32 v1, v1
	v_mul_f32_e32 v1, 0x4f7ffffe, v1
	v_cvt_u32_f32_e32 v1, v1
	v_readfirstlane_b32 s9, v1
	s_mul_i32 s8, s8, s9
	s_mul_hi_u32 s8, s9, s8
	s_add_i32 s9, s9, s8
	s_mul_hi_u32 s8, s6, s9
	s_mul_i32 s10, s8, s22
	s_sub_i32 s10, s6, s10
	s_add_i32 s9, s8, 1
	s_sub_i32 s11, s10, s22
	s_cmp_ge_u32 s10, s22
	s_cselect_b32 s8, s9, s8
	s_cselect_b32 s10, s11, s10
	s_add_i32 s9, s8, 1
	s_cmp_ge_u32 s10, s22
	s_cselect_b32 s24, s9, s8
.LBB0_2:
	s_load_dwordx2 s[12:13], s[4:5], 0x58
	s_load_dwordx4 s[8:11], s[2:3], 0x0
	s_mul_i32 s16, s24, s23
	s_mul_hi_u32 s17, s24, s22
	s_add_i32 s17, s17, s16
	s_mul_i32 s16, s24, s22
	s_sub_u32 s26, s6, s16
	s_subb_u32 s27, 0, s17
	v_mov_b32_e32 v1, s26
	v_alignbit_b32 v1, s27, v1, 28
	s_waitcnt lgkmcnt(0)
	v_mul_lo_u32 v1, s10, v1
	s_load_dwordx2 s[20:21], s[4:5], 0x0
	s_load_dwordx4 s[16:19], s[4:5], 0x8
	s_lshl_b64 s[4:5], s[26:27], 4
	s_mul_hi_u32 s26, s10, s4
	v_add_u32_e32 v1, s26, v1
	s_mul_i32 s26, s11, s4
	v_add_u32_e32 v3, s26, v1
	s_waitcnt lgkmcnt(0)
	v_cmp_lt_u64_e64 s[26:27], s[18:19], 3
	s_mul_i32 s28, s10, s4
	v_mov_b32_e32 v4, s28
	s_and_b64 vcc, exec, s[26:27]
	s_cbranch_vccnz .LBB0_11
; %bb.3:
	s_add_u32 s26, s2, 16
	s_addc_u32 s27, s3, 0
	s_add_u32 s28, s0, 16
	v_mov_b32_e32 v1, s18
	s_addc_u32 s29, s1, 0
	s_mov_b64 s[30:31], 2
	s_mov_b32 s34, 0
	v_mov_b32_e32 v2, s19
	s_branch .LBB0_5
.LBB0_4:                                ;   in Loop: Header=BB0_5 Depth=1
	s_mul_i32 s23, s36, s23
	s_mul_hi_u32 s33, s36, s22
	s_add_i32 s23, s33, s23
	s_mul_i32 s33, s37, s22
	s_add_i32 s23, s23, s33
	s_mul_i32 s33, s0, s37
	s_mul_hi_u32 s35, s0, s36
	s_load_dwordx2 s[38:39], s[26:27], 0x0
	s_add_i32 s33, s35, s33
	s_mul_i32 s35, s1, s36
	s_add_i32 s33, s33, s35
	s_mul_i32 s35, s0, s36
	s_sub_u32 s24, s24, s35
	s_subb_u32 s25, s25, s33
	s_waitcnt lgkmcnt(0)
	s_mul_i32 s25, s38, s25
	s_mul_hi_u32 s33, s38, s24
	s_add_i32 s25, s33, s25
	s_mul_i32 s33, s39, s24
	s_add_i32 s25, s25, s33
	s_mul_i32 s24, s38, s24
	s_add_u32 s30, s30, 1
	v_mov_b32_e32 v5, s25
	v_add_co_u32_e32 v4, vcc, s24, v4
	s_addc_u32 s31, s31, 0
	v_addc_co_u32_e32 v3, vcc, v5, v3, vcc
	s_add_u32 s26, s26, 8
	s_addc_u32 s27, s27, 0
	v_cmp_ge_u64_e32 vcc, s[30:31], v[1:2]
	s_add_u32 s28, s28, 8
	s_mul_i32 s22, s36, s22
	s_addc_u32 s29, s29, 0
	s_mov_b64 s[24:25], s[0:1]
	s_cbranch_vccnz .LBB0_9
.LBB0_5:                                ; =>This Inner Loop Header: Depth=1
	s_load_dwordx2 s[36:37], s[28:29], 0x0
	s_waitcnt lgkmcnt(0)
	s_or_b64 s[0:1], s[24:25], s[36:37]
	s_mov_b32 s35, s1
	s_cmp_lg_u64 s[34:35], 0
	s_cbranch_scc0 .LBB0_7
; %bb.6:                                ;   in Loop: Header=BB0_5 Depth=1
	v_cvt_f32_u32_e32 v5, s36
	v_cvt_f32_u32_e32 v6, s37
	s_sub_u32 s0, 0, s36
	s_subb_u32 s1, 0, s37
	v_mac_f32_e32 v5, 0x4f800000, v6
	v_rcp_f32_e32 v5, v5
	v_mul_f32_e32 v5, 0x5f7ffffc, v5
	v_mul_f32_e32 v6, 0x2f800000, v5
	v_trunc_f32_e32 v6, v6
	v_mac_f32_e32 v5, 0xcf800000, v6
	v_cvt_u32_f32_e32 v6, v6
	v_cvt_u32_f32_e32 v5, v5
	v_readfirstlane_b32 s33, v6
	v_readfirstlane_b32 s35, v5
	s_mul_i32 s38, s0, s33
	s_mul_hi_u32 s40, s0, s35
	s_mul_i32 s39, s1, s35
	s_add_i32 s38, s40, s38
	s_mul_i32 s41, s0, s35
	s_add_i32 s38, s38, s39
	s_mul_hi_u32 s39, s35, s38
	s_mul_i32 s40, s35, s38
	s_mul_hi_u32 s35, s35, s41
	s_add_u32 s35, s35, s40
	s_addc_u32 s39, 0, s39
	s_mul_hi_u32 s42, s33, s41
	s_mul_i32 s41, s33, s41
	s_add_u32 s35, s35, s41
	s_mul_hi_u32 s40, s33, s38
	s_addc_u32 s35, s39, s42
	s_addc_u32 s39, s40, 0
	s_mul_i32 s38, s33, s38
	s_add_u32 s35, s35, s38
	s_addc_u32 s38, 0, s39
	v_add_co_u32_e32 v5, vcc, s35, v5
	s_cmp_lg_u64 vcc, 0
	s_addc_u32 s33, s33, s38
	v_readfirstlane_b32 s38, v5
	s_mul_i32 s35, s0, s33
	s_mul_hi_u32 s39, s0, s38
	s_add_i32 s35, s39, s35
	s_mul_i32 s1, s1, s38
	s_add_i32 s35, s35, s1
	s_mul_i32 s0, s0, s38
	s_mul_hi_u32 s39, s33, s0
	s_mul_i32 s40, s33, s0
	s_mul_i32 s42, s38, s35
	s_mul_hi_u32 s0, s38, s0
	s_mul_hi_u32 s41, s38, s35
	s_add_u32 s0, s0, s42
	s_addc_u32 s38, 0, s41
	s_add_u32 s0, s0, s40
	s_mul_hi_u32 s1, s33, s35
	s_addc_u32 s0, s38, s39
	s_addc_u32 s1, s1, 0
	s_mul_i32 s35, s33, s35
	s_add_u32 s0, s0, s35
	s_addc_u32 s1, 0, s1
	v_add_co_u32_e32 v5, vcc, s0, v5
	s_cmp_lg_u64 vcc, 0
	s_addc_u32 s0, s33, s1
	v_readfirstlane_b32 s35, v5
	s_mul_i32 s33, s24, s0
	s_mul_hi_u32 s38, s24, s35
	s_mul_hi_u32 s1, s24, s0
	s_add_u32 s33, s38, s33
	s_addc_u32 s1, 0, s1
	s_mul_hi_u32 s39, s25, s35
	s_mul_i32 s35, s25, s35
	s_add_u32 s33, s33, s35
	s_mul_hi_u32 s38, s25, s0
	s_addc_u32 s1, s1, s39
	s_addc_u32 s33, s38, 0
	s_mul_i32 s0, s25, s0
	s_add_u32 s35, s1, s0
	s_addc_u32 s33, 0, s33
	s_mul_i32 s0, s36, s33
	s_mul_hi_u32 s1, s36, s35
	s_add_i32 s0, s1, s0
	s_mul_i32 s1, s37, s35
	s_add_i32 s38, s0, s1
	s_mul_i32 s1, s36, s35
	v_mov_b32_e32 v5, s1
	s_sub_i32 s0, s25, s38
	v_sub_co_u32_e32 v5, vcc, s24, v5
	s_cmp_lg_u64 vcc, 0
	s_subb_u32 s39, s0, s37
	v_subrev_co_u32_e64 v6, s[0:1], s36, v5
	s_cmp_lg_u64 s[0:1], 0
	s_subb_u32 s0, s39, 0
	s_cmp_ge_u32 s0, s37
	v_readfirstlane_b32 s39, v6
	s_cselect_b32 s1, -1, 0
	s_cmp_ge_u32 s39, s36
	s_cselect_b32 s39, -1, 0
	s_cmp_eq_u32 s0, s37
	s_cselect_b32 s0, s39, s1
	s_add_u32 s1, s35, 1
	s_addc_u32 s39, s33, 0
	s_add_u32 s40, s35, 2
	s_addc_u32 s41, s33, 0
	s_cmp_lg_u32 s0, 0
	s_cselect_b32 s0, s40, s1
	s_cselect_b32 s1, s41, s39
	s_cmp_lg_u64 vcc, 0
	s_subb_u32 s38, s25, s38
	s_cmp_ge_u32 s38, s37
	v_readfirstlane_b32 s40, v5
	s_cselect_b32 s39, -1, 0
	s_cmp_ge_u32 s40, s36
	s_cselect_b32 s40, -1, 0
	s_cmp_eq_u32 s38, s37
	s_cselect_b32 s38, s40, s39
	s_cmp_lg_u32 s38, 0
	s_cselect_b32 s1, s1, s33
	s_cselect_b32 s0, s0, s35
	s_cbranch_execnz .LBB0_4
	s_branch .LBB0_8
.LBB0_7:                                ;   in Loop: Header=BB0_5 Depth=1
                                        ; implicit-def: $sgpr0_sgpr1
.LBB0_8:                                ;   in Loop: Header=BB0_5 Depth=1
	v_cvt_f32_u32_e32 v5, s36
	s_sub_i32 s0, 0, s36
	v_rcp_iflag_f32_e32 v5, v5
	v_mul_f32_e32 v5, 0x4f7ffffe, v5
	v_cvt_u32_f32_e32 v5, v5
	v_readfirstlane_b32 s1, v5
	s_mul_i32 s0, s0, s1
	s_mul_hi_u32 s0, s1, s0
	s_add_i32 s1, s1, s0
	s_mul_hi_u32 s0, s24, s1
	s_mul_i32 s33, s0, s36
	s_sub_i32 s33, s24, s33
	s_add_i32 s1, s0, 1
	s_sub_i32 s35, s33, s36
	s_cmp_ge_u32 s33, s36
	s_cselect_b32 s0, s1, s0
	s_cselect_b32 s33, s35, s33
	s_add_i32 s1, s0, 1
	s_cmp_ge_u32 s33, s36
	s_cselect_b32 s0, s1, s0
	s_mov_b32 s1, s34
	s_branch .LBB0_4
.LBB0_9:
	v_mov_b32_e32 v1, s22
	v_mov_b32_e32 v2, s23
	v_cmp_lt_u64_e32 vcc, s[6:7], v[1:2]
	s_mov_b64 s[24:25], 0
	s_cbranch_vccnz .LBB0_11
; %bb.10:
	v_cvt_f32_u32_e32 v1, s22
	s_sub_i32 s0, 0, s22
	v_rcp_iflag_f32_e32 v1, v1
	v_mul_f32_e32 v1, 0x4f7ffffe, v1
	v_cvt_u32_f32_e32 v1, v1
	v_readfirstlane_b32 s1, v1
	s_mul_i32 s0, s0, s1
	s_mul_hi_u32 s0, s1, s0
	s_add_i32 s1, s1, s0
	s_mul_hi_u32 s0, s6, s1
	s_mul_i32 s7, s0, s22
	s_sub_i32 s6, s6, s7
	s_add_i32 s1, s0, 1
	s_sub_i32 s7, s6, s22
	s_cmp_ge_u32 s6, s22
	s_cselect_b32 s0, s1, s0
	s_cselect_b32 s6, s7, s6
	s_add_i32 s1, s0, 1
	s_cmp_ge_u32 s6, s22
	s_cselect_b32 s24, s1, s0
.LBB0_11:
	s_lshl_b64 s[0:1], s[18:19], 3
	s_add_u32 s0, s2, s0
	s_addc_u32 s1, s3, s1
	s_load_dwordx2 s[0:1], s[0:1], 0x0
	v_and_b32_e32 v32, 15, v0
	v_or_b32_e32 v5, s4, v32
	v_mov_b32_e32 v6, s5
	v_lshrrev_b32_e32 v33, 4, v0
	s_waitcnt lgkmcnt(0)
	s_mul_i32 s1, s1, s24
	s_mul_hi_u32 s2, s0, s24
	s_mul_i32 s0, s0, s24
	s_add_i32 s1, s2, s1
	v_mov_b32_e32 v2, s1
	v_add_co_u32_e32 v1, vcc, s0, v4
	v_addc_co_u32_e32 v2, vcc, v2, v3, vcc
	s_add_u32 s0, s4, 16
	v_mov_b32_e32 v3, s14
	s_addc_u32 s1, s5, 0
	v_mov_b32_e32 v4, s15
	v_cmp_le_u64_e32 vcc, s[0:1], v[3:4]
	v_mad_u64_u32 v[3:4], s[0:1], s10, v32, 0
	s_movk_i32 s0, 0x7f
	v_cmp_lt_u32_e64 s[4:5], s0, v0
	s_movk_i32 s0, 0x80
	v_cmp_gt_u32_e64 s[2:3], s0, v0
	v_cmp_gt_u64_e64 s[0:1], s[14:15], v[5:6]
	v_mul_lo_u32 v7, s8, v33
	v_cndmask_b32_e64 v8, 0, 1, s[2:3]
	v_cndmask_b32_e64 v6, 0, 1, s[0:1]
	s_or_b64 s[4:5], s[4:5], vcc
	v_cndmask_b32_e64 v6, v6, v8, s[4:5]
	v_and_b32_e32 v6, 1, v6
	v_add_lshl_u32 v7, v3, v7, 3
	v_cmp_eq_u32_e64 s[4:5], 1, v6
	v_add_u32_e32 v6, 8, v33
	v_cndmask_b32_e64 v34, -1, v7, s[4:5]
	v_mul_lo_u32 v6, s8, v6
	v_or_b32_e32 v7, 16, v33
	v_mul_lo_u32 v7, s8, v7
	v_lshlrev_b32_e32 v8, 3, v1
	v_add_lshl_u32 v6, v3, v6, 3
	v_cndmask_b32_e64 v35, -1, v6, s[4:5]
	v_add_lshl_u32 v6, v3, v7, 3
	v_add_u32_e32 v7, 24, v33
	v_readfirstlane_b32 s6, v8
	v_mul_lo_u32 v7, s8, v7
	v_or_b32_e32 v8, 32, v33
	v_mul_lo_u32 v8, s8, v8
	v_cndmask_b32_e64 v36, -1, v6, s[4:5]
	v_add_lshl_u32 v6, v3, v7, 3
	v_add_u32_e32 v7, 40, v33
	v_cndmask_b32_e64 v37, -1, v6, s[4:5]
	v_add_lshl_u32 v6, v3, v8, 3
	v_mul_lo_u32 v7, s8, v7
	v_or_b32_e32 v8, 48, v33
	v_mul_lo_u32 v8, s8, v8
	v_cndmask_b32_e64 v38, -1, v6, s[4:5]
	v_add_lshl_u32 v6, v3, v7, 3
	v_add_u32_e32 v7, 56, v33
	v_cndmask_b32_e64 v39, -1, v6, s[4:5]
	v_add_lshl_u32 v6, v3, v8, 3
	;; [unrolled: 8-line block ×4, first 2 shown]
	v_mul_lo_u32 v7, s8, v7
	v_or_b32_e32 v8, 0x60, v33
	v_mul_lo_u32 v8, s8, v8
	v_cndmask_b32_e64 v44, -1, v6, s[4:5]
	v_add_lshl_u32 v6, v3, v7, 3
	s_mov_b32 s15, 0x20000
	s_mov_b32 s14, -2
	v_cndmask_b32_e64 v45, -1, v6, s[4:5]
	v_add_lshl_u32 v6, v3, v8, 3
	v_cndmask_b32_e64 v46, -1, v6, s[4:5]
	buffer_load_dwordx2 v[6:7], v34, s[12:15], s6 offen
	buffer_load_dwordx2 v[8:9], v35, s[12:15], s6 offen
	;; [unrolled: 1-line block ×13, first 2 shown]
	v_lshlrev_b32_e32 v34, 3, v32
	s_and_saveexec_b64 s[4:5], s[2:3]
	s_cbranch_execz .LBB0_13
; %bb.12:
	s_waitcnt vmcnt(11)
	v_add_f32_e32 v37, v7, v9
	s_waitcnt vmcnt(10)
	v_add_f32_e32 v37, v37, v11
	v_add_f32_e32 v38, v6, v8
	s_waitcnt vmcnt(9)
	v_add_f32_e32 v37, v37, v15
	;; [unrolled: 3-line block ×5, first 2 shown]
	v_add_f32_e32 v38, v38, v24
	s_waitcnt vmcnt(5)
	v_sub_f32_e32 v36, v30, v28
	v_add_f32_e32 v35, v29, v31
	v_add_f32_e32 v38, v38, v30
	;; [unrolled: 1-line block ×3, first 2 shown]
	v_sub_f32_e32 v30, v31, v29
	v_add_f32_e32 v29, v37, v29
	v_add_f32_e32 v28, v38, v28
	s_waitcnt vmcnt(4)
	v_sub_f32_e32 v31, v24, v26
	v_add_f32_e32 v37, v27, v25
	v_add_f32_e32 v38, v26, v24
	v_sub_f32_e32 v24, v25, v27
	v_add_f32_e32 v25, v29, v27
	v_add_f32_e32 v26, v28, v26
	s_waitcnt vmcnt(3)
	v_sub_f32_e32 v27, v20, v22
	v_add_f32_e32 v40, v23, v21
	v_add_f32_e32 v41, v22, v20
	;; [unrolled: 7-line block ×3, first 2 shown]
	s_waitcnt vmcnt(0)
	v_sub_f32_e32 v26, v8, v12
	v_add_f32_e32 v42, v19, v15
	v_sub_f32_e32 v25, v15, v19
	v_add_f32_e32 v15, v22, v18
	;; [unrolled: 2-line block ×3, first 2 shown]
	v_add_f32_e32 v10, v14, v17
	v_mul_f32_e32 v29, 0xbe750f2a, v26
	v_add_f32_e32 v44, v17, v11
	v_sub_f32_e32 v22, v11, v17
	v_add_f32_e32 v11, v15, v16
	v_add_f32_e32 v46, v13, v9
	v_sub_f32_e32 v28, v9, v13
	v_add_f32_e32 v9, v10, v13
	v_mov_b32_e32 v10, v29
	v_mul_f32_e32 v48, 0x3eedf032, v21
	v_add_f32_e32 v47, v12, v8
	v_add_f32_e32 v8, v11, v12
	v_fmac_f32_e32 v10, 0xbf788fa5, v46
	v_mov_b32_e32 v11, v48
	v_add_f32_e32 v10, v7, v10
	v_fmac_f32_e32 v11, 0x3f62ad3f, v44
	v_mul_f32_e32 v49, 0xbf29c268, v23
	v_add_f32_e32 v10, v11, v10
	v_mov_b32_e32 v11, v49
	v_fmac_f32_e32 v11, 0xbf3f9e67, v42
	v_mul_f32_e32 v50, 0x3f52af12, v27
	v_add_f32_e32 v10, v11, v10
	v_mov_b32_e32 v11, v50
	;; [unrolled: 4-line block ×3, first 2 shown]
	v_fmac_f32_e32 v11, 0xbeb58ec6, v37
	s_mov_b32 s2, 0xbf788fa5
	v_mul_f32_e32 v52, 0xbe750f2a, v28
	v_add_f32_e32 v10, v11, v10
	s_mov_b32 s10, 0x3f62ad3f
	v_fma_f32 v11, v47, s2, -v52
	v_mul_f32_e32 v53, 0x3eedf032, v22
	v_add_f32_e32 v11, v6, v11
	v_fma_f32 v12, v45, s10, -v53
	s_mov_b32 s3, 0xbf3f9e67
	v_mul_f32_e32 v54, 0xbf29c268, v25
	v_add_f32_e32 v11, v12, v11
	v_fma_f32 v12, v43, s3, -v54
	s_mov_b32 s6, 0x3f116cb1
	;; [unrolled: 4-line block ×3, first 2 shown]
	v_mul_f32_e32 v56, 0xbf6f5d39, v24
	v_add_f32_e32 v11, v12, v11
	v_fma_f32 v12, v38, s7, -v56
	v_mul_f32_e32 v57, 0x3f7e222b, v36
	v_add_f32_e32 v12, v12, v11
	v_mov_b32_e32 v11, v57
	s_mov_b32 s14, 0x3df6dbef
	v_fmac_f32_e32 v11, 0x3df6dbef, v35
	v_mul_f32_e32 v58, 0x3f7e222b, v30
	v_add_f32_e32 v11, v11, v10
	v_fma_f32 v10, v39, s14, -v58
	v_mul_f32_e32 v59, 0xbf29c268, v26
	v_add_f32_e32 v10, v10, v12
	v_mov_b32_e32 v12, v59
	v_mul_f32_e32 v60, 0x3f7e222b, v21
	v_fmac_f32_e32 v12, 0xbf3f9e67, v46
	v_mov_b32_e32 v13, v60
	v_add_f32_e32 v12, v7, v12
	v_fmac_f32_e32 v13, 0x3df6dbef, v44
	v_mul_f32_e32 v61, 0xbf52af12, v23
	v_add_f32_e32 v12, v13, v12
	v_mov_b32_e32 v13, v61
	v_fmac_f32_e32 v13, 0x3f116cb1, v42
	v_mul_f32_e32 v62, 0x3e750f2a, v27
	v_add_f32_e32 v12, v13, v12
	v_mov_b32_e32 v13, v62
	v_fmac_f32_e32 v13, 0xbf788fa5, v40
	v_mul_f32_e32 v63, 0x3eedf032, v31
	v_add_f32_e32 v12, v13, v12
	v_mov_b32_e32 v13, v63
	v_fmac_f32_e32 v13, 0x3f62ad3f, v37
	v_mul_f32_e32 v64, 0xbf29c268, v28
	v_add_f32_e32 v12, v13, v12
	v_fma_f32 v13, v47, s3, -v64
	v_mul_f32_e32 v65, 0x3f7e222b, v22
	v_add_f32_e32 v13, v6, v13
	v_fma_f32 v14, v45, s14, -v65
	v_mul_f32_e32 v66, 0xbf52af12, v25
	v_add_f32_e32 v13, v14, v13
	v_fma_f32 v14, v43, s6, -v66
	v_mul_f32_e32 v67, 0x3e750f2a, v20
	v_add_f32_e32 v13, v14, v13
	v_fma_f32 v14, v41, s2, -v67
	v_mul_f32_e32 v68, 0x3eedf032, v24
	v_add_f32_e32 v13, v14, v13
	v_fma_f32 v14, v38, s10, -v68
	v_mul_f32_e32 v69, 0xbf6f5d39, v36
	v_add_f32_e32 v14, v14, v13
	v_mov_b32_e32 v13, v69
	v_fmac_f32_e32 v13, 0xbeb58ec6, v35
	v_mul_f32_e32 v70, 0xbf6f5d39, v30
	v_add_f32_e32 v13, v13, v12
	v_fma_f32 v12, v39, s7, -v70
	v_mul_f32_e32 v71, 0xbf6f5d39, v26
	v_add_f32_e32 v12, v12, v14
	v_mov_b32_e32 v14, v71
	v_mul_f32_e32 v72, 0x3f29c268, v21
	v_fmac_f32_e32 v14, 0xbeb58ec6, v46
	v_mov_b32_e32 v15, v72
	v_add_f32_e32 v14, v7, v14
	v_fmac_f32_e32 v15, 0xbf3f9e67, v44
	v_mul_f32_e32 v73, 0x3eedf032, v23
	v_add_f32_e32 v14, v15, v14
	v_mov_b32_e32 v15, v73
	v_fmac_f32_e32 v15, 0x3f62ad3f, v42
	v_mul_f32_e32 v74, 0xbf7e222b, v27
	v_add_f32_e32 v14, v15, v14
	v_mov_b32_e32 v15, v74
	v_fmac_f32_e32 v15, 0x3df6dbef, v40
	v_mul_f32_e32 v75, 0x3e750f2a, v31
	v_add_f32_e32 v14, v15, v14
	v_mov_b32_e32 v15, v75
	v_fmac_f32_e32 v15, 0xbf788fa5, v37
	v_mul_f32_e32 v76, 0xbf6f5d39, v28
	v_add_f32_e32 v14, v15, v14
	v_fma_f32 v15, v47, s7, -v76
	v_mul_f32_e32 v77, 0x3f29c268, v22
	v_add_f32_e32 v15, v6, v15
	v_fma_f32 v16, v45, s3, -v77
	v_mul_f32_e32 v78, 0x3eedf032, v25
	v_add_f32_e32 v15, v16, v15
	v_fma_f32 v16, v43, s10, -v78
	v_mul_f32_e32 v79, 0xbf7e222b, v20
	v_add_f32_e32 v15, v16, v15
	v_fma_f32 v16, v41, s14, -v79
	v_mul_f32_e32 v80, 0x3e750f2a, v24
	v_add_f32_e32 v15, v16, v15
	v_fma_f32 v16, v38, s2, -v80
	v_mul_f32_e32 v81, 0x3f52af12, v36
	v_add_f32_e32 v16, v16, v15
	v_mov_b32_e32 v15, v81
	;; [unrolled: 42-line block ×3, first 2 shown]
	v_fmac_f32_e32 v17, 0xbf3f9e67, v35
	v_mul_f32_e32 v94, 0xbf29c268, v30
	v_add_f32_e32 v17, v17, v16
	v_fma_f32 v16, v39, s3, -v94
	v_mul_f32_e32 v95, 0xbf52af12, v26
	v_add_f32_e32 v16, v16, v18
	v_mov_b32_e32 v18, v95
	v_mul_f32_e32 v96, 0xbf6f5d39, v21
	v_fmac_f32_e32 v18, 0x3f116cb1, v46
	v_mov_b32_e32 v19, v96
	v_add_f32_e32 v18, v7, v18
	v_fmac_f32_e32 v19, 0xbeb58ec6, v44
	v_mul_f32_e32 v97, 0xbe750f2a, v23
	v_add_f32_e32 v18, v19, v18
	v_mov_b32_e32 v19, v97
	v_fmac_f32_e32 v19, 0xbf788fa5, v42
	v_mul_f32_e32 v98, 0x3f29c268, v27
	v_add_f32_e32 v18, v19, v18
	v_mov_b32_e32 v19, v98
	;; [unrolled: 4-line block ×3, first 2 shown]
	v_fmac_f32_e32 v19, 0x3df6dbef, v37
	v_mul_f32_e32 v100, 0xbf52af12, v28
	v_add_f32_e32 v18, v19, v18
	v_fma_f32 v19, v47, s6, -v100
	v_mul_f32_e32 v101, 0xbf6f5d39, v22
	v_add_f32_e32 v19, v6, v19
	v_fma_f32 v102, v45, s7, -v101
	v_add_f32_e32 v19, v102, v19
	v_mul_f32_e32 v102, 0xbe750f2a, v25
	v_fma_f32 v103, v43, s2, -v102
	v_add_f32_e32 v19, v103, v19
	v_mul_f32_e32 v103, 0x3f29c268, v20
	;; [unrolled: 3-line block ×3, first 2 shown]
	v_fma_f32 v105, v38, s14, -v104
	v_mul_f32_e32 v106, 0x3eedf032, v36
	v_add_f32_e32 v105, v105, v19
	v_mov_b32_e32 v19, v106
	v_fmac_f32_e32 v19, 0x3f62ad3f, v35
	v_mul_f32_e32 v107, 0x3eedf032, v30
	v_add_f32_e32 v19, v19, v18
	v_fma_f32 v18, v39, s10, -v107
	v_add_f32_e32 v18, v18, v105
	v_mul_f32_e32 v105, 0xbeedf032, v26
	v_mov_b32_e32 v26, v105
	v_mul_f32_e32 v108, 0xbf52af12, v21
	v_fmac_f32_e32 v26, 0x3f62ad3f, v46
	v_mov_b32_e32 v21, v108
	v_mul_f32_e32 v109, 0xbf7e222b, v23
	v_add_f32_e32 v26, v7, v26
	v_fmac_f32_e32 v21, 0x3f116cb1, v44
	v_mov_b32_e32 v23, v109
	v_add_f32_e32 v21, v21, v26
	v_fmac_f32_e32 v23, 0x3df6dbef, v42
	v_mul_f32_e32 v110, 0xbf6f5d39, v27
	v_add_f32_e32 v21, v23, v21
	v_mov_b32_e32 v23, v110
	v_fmac_f32_e32 v23, 0xbeb58ec6, v40
	v_mul_f32_e32 v111, 0xbf29c268, v31
	v_add_f32_e32 v21, v23, v21
	v_mov_b32_e32 v23, v111
	v_fmac_f32_e32 v23, 0xbf3f9e67, v37
	v_mul_f32_e32 v112, 0xbeedf032, v28
	v_add_f32_e32 v21, v23, v21
	v_fma_f32 v23, v47, s10, -v112
	v_mul_f32_e32 v113, 0xbf52af12, v22
	v_add_f32_e32 v23, v6, v23
	v_fma_f32 v22, v45, s6, -v113
	;; [unrolled: 3-line block ×5, first 2 shown]
	v_mul_f32_e32 v36, 0xbe750f2a, v36
	v_add_f32_e32 v20, v22, v20
	v_mov_b32_e32 v22, v36
	v_fmac_f32_e32 v22, 0xbf788fa5, v35
	v_mul_f32_e32 v117, 0xbe750f2a, v30
	v_add_f32_e32 v21, v22, v21
	v_fma_f32 v22, v39, s2, -v117
	v_add_f32_e32 v20, v22, v20
	v_fma_f32 v22, v46, s2, -v29
	;; [unrolled: 2-line block ×6, first 2 shown]
	v_fmac_f32_e32 v52, 0xbf788fa5, v47
	v_add_f32_e32 v22, v23, v22
	v_add_f32_e32 v23, v6, v52
	v_fmac_f32_e32 v53, 0x3f62ad3f, v45
	v_add_f32_e32 v23, v53, v23
	v_fmac_f32_e32 v54, 0xbf3f9e67, v43
	v_add_f32_e32 v23, v54, v23
	v_fmac_f32_e32 v55, 0x3f116cb1, v41
	v_add_f32_e32 v23, v55, v23
	v_fmac_f32_e32 v56, 0xbeb58ec6, v38
	v_add_f32_e32 v24, v56, v23
	v_fma_f32 v23, v35, s14, -v57
	v_fmac_f32_e32 v58, 0x3df6dbef, v39
	v_add_f32_e32 v23, v23, v22
	v_add_f32_e32 v22, v58, v24
	v_fma_f32 v24, v46, s3, -v59
	v_add_f32_e32 v24, v7, v24
	v_fma_f32 v25, v44, s14, -v60
	v_add_f32_e32 v24, v25, v24
	v_fma_f32 v25, v42, s6, -v61
	v_add_f32_e32 v24, v25, v24
	v_fma_f32 v25, v40, s2, -v62
	v_add_f32_e32 v24, v25, v24
	v_fma_f32 v25, v37, s10, -v63
	v_fmac_f32_e32 v64, 0xbf3f9e67, v47
	v_add_f32_e32 v24, v25, v24
	v_add_f32_e32 v25, v6, v64
	v_fmac_f32_e32 v65, 0x3df6dbef, v45
	v_add_f32_e32 v25, v65, v25
	v_fmac_f32_e32 v66, 0x3f116cb1, v43
	v_add_f32_e32 v25, v66, v25
	v_fmac_f32_e32 v67, 0xbf788fa5, v41
	v_add_f32_e32 v25, v67, v25
	v_fmac_f32_e32 v68, 0x3f62ad3f, v38
	v_add_f32_e32 v26, v68, v25
	v_fma_f32 v25, v35, s7, -v69
	v_fmac_f32_e32 v70, 0xbeb58ec6, v39
	v_add_f32_e32 v25, v25, v24
	v_add_f32_e32 v24, v70, v26
	v_fma_f32 v26, v46, s7, -v71
	v_add_f32_e32 v26, v7, v26
	v_fma_f32 v27, v44, s3, -v72
	v_add_f32_e32 v26, v27, v26
	v_fma_f32 v27, v42, s10, -v73
	v_add_f32_e32 v26, v27, v26
	v_fma_f32 v27, v40, s14, -v74
	v_add_f32_e32 v26, v27, v26
	v_fma_f32 v27, v37, s2, -v75
	;; [unrolled: 24-line block ×4, first 2 shown]
	v_fmac_f32_e32 v100, 0x3f116cb1, v47
	v_fma_f32 v46, v46, s10, -v105
	v_add_f32_e32 v30, v31, v30
	v_add_f32_e32 v31, v6, v100
	v_fmac_f32_e32 v101, 0xbeb58ec6, v45
	v_add_f32_e32 v7, v7, v46
	v_fma_f32 v44, v44, s6, -v108
	v_add_f32_e32 v31, v101, v31
	v_fmac_f32_e32 v102, 0xbf788fa5, v43
	v_fmac_f32_e32 v112, 0x3f62ad3f, v47
	v_add_f32_e32 v7, v44, v7
	v_fma_f32 v42, v42, s14, -v109
	v_add_f32_e32 v31, v102, v31
	v_fmac_f32_e32 v103, 0xbf3f9e67, v41
	v_add_f32_e32 v6, v6, v112
	v_add_f32_e32 v7, v42, v7
	v_fma_f32 v40, v40, s7, -v110
	v_fmac_f32_e32 v113, 0x3f116cb1, v45
	v_add_f32_e32 v31, v103, v31
	v_fmac_f32_e32 v104, 0x3df6dbef, v38
	v_add_f32_e32 v7, v40, v7
	v_fma_f32 v37, v37, s3, -v111
	v_add_f32_e32 v6, v113, v6
	v_fmac_f32_e32 v114, 0x3df6dbef, v43
	v_add_f32_e32 v48, v104, v31
	v_fma_f32 v31, v35, s10, -v106
	v_add_f32_e32 v7, v37, v7
	v_fma_f32 v35, v35, s2, -v36
	v_add_f32_e32 v6, v114, v6
	v_fmac_f32_e32 v115, 0xbeb58ec6, v41
	v_add_f32_e32 v6, v115, v6
	v_fmac_f32_e32 v116, 0xbf3f9e67, v38
	v_add_f32_e32 v7, v35, v7
	v_mul_u32_u24_e32 v35, 0x680, v33
	v_fmac_f32_e32 v107, 0x3f62ad3f, v39
	v_add_f32_e32 v6, v116, v6
	v_fmac_f32_e32 v117, 0xbf788fa5, v39
	v_add3_u32 v35, 0, v35, v34
	v_add_f32_e32 v31, v31, v30
	v_add_f32_e32 v30, v107, v48
	;; [unrolled: 1-line block ×3, first 2 shown]
	ds_write2_b64 v35, v[8:9], v[20:21] offset1:16
	ds_write2_b64 v35, v[18:19], v[16:17] offset0:32 offset1:48
	ds_write2_b64 v35, v[14:15], v[12:13] offset0:64 offset1:80
	;; [unrolled: 1-line block ×5, first 2 shown]
	ds_write_b64 v35, v[6:7] offset:1536
.LBB0_13:
	s_or_b64 exec, exec, s[4:5]
	s_or_b64 s[0:1], vcc, s[0:1]
	s_waitcnt vmcnt(0) lgkmcnt(0)
	s_barrier
	s_and_saveexec_b64 s[2:3], s[0:1]
	s_cbranch_execz .LBB0_15
; %bb.14:
	v_mul_lo_u16_e32 v6, 20, v33
	v_mov_b32_e32 v7, 13
	v_mul_lo_u16_sdwa v6, v6, v7 dst_sel:DWORD dst_unused:UNUSED_PAD src0_sel:BYTE_1 src1_sel:DWORD
	v_sub_u16_e32 v6, v33, v6
	v_and_b32_e32 v6, 0xff, v6
	v_mul_u32_u24_e32 v7, 7, v6
	v_lshlrev_b32_e32 v19, 3, v7
	global_load_dwordx4 v[7:10], v19, s[20:21]
	global_load_dwordx4 v[11:14], v19, s[20:21] offset:32
	global_load_dwordx4 v[15:18], v19, s[20:21] offset:16
	global_load_dwordx2 v[35:36], v19, s[20:21] offset:48
	v_add_u32_e32 v19, 0x5b, v6
	v_mul_lo_u32 v19, v5, v19
	v_mov_b32_e32 v49, 3
	v_mov_b32_e32 v50, 0x1000
	v_mad_u64_u32 v[43:44], s[0:1], s11, v32, v[4:5]
	v_lshlrev_b32_sdwa v20, v49, v19 dst_sel:DWORD dst_unused:UNUSED_PAD src0_sel:DWORD src1_sel:BYTE_0
	v_lshlrev_b32_sdwa v21, v49, v19 dst_sel:DWORD dst_unused:UNUSED_PAD src0_sel:DWORD src1_sel:BYTE_1
	global_load_dwordx2 v[37:38], v20, s[16:17]
	global_load_dwordx2 v[39:40], v21, s[16:17] offset:2048
	v_bfe_u32 v19, v19, 16, 8
	v_lshl_or_b32 v19, v19, 3, v50
	global_load_dwordx2 v[41:42], v19, s[16:17]
	v_add_u32_e32 v28, 0x4e, v6
	v_mul_lo_u32 v44, v5, v28
	v_lshlrev_b32_e32 v19, 7, v33
	v_add3_u32 v4, 0, v19, v34
	ds_read2_b64 v[19:22], v4 offset1:208
	v_add_u32_e32 v23, 0x1a00, v4
	v_add_u32_e32 v27, 0xc00, v4
	;; [unrolled: 1-line block ×3, first 2 shown]
	ds_read2_b64 v[23:26], v23 offset1:208
	ds_read2_b64 v[27:30], v27 offset0:32 offset1:240
	ds_read2_b64 v[31:34], v4 offset0:32 offset1:240
	v_mov_b32_e32 v4, v43
	v_bfe_u32 v43, v44, 16, 8
	v_lshlrev_b32_sdwa v51, v49, v44 dst_sel:DWORD dst_unused:UNUSED_PAD src0_sel:DWORD src1_sel:BYTE_0
	v_lshl_or_b32 v43, v43, 3, v50
	v_lshlrev_b32_sdwa v52, v49, v44 dst_sel:DWORD dst_unused:UNUSED_PAD src0_sel:DWORD src1_sel:BYTE_1
	global_load_dwordx2 v[43:44], v43, s[16:17]
	s_nop 0
	global_load_dwordx2 v[45:46], v51, s[16:17]
	global_load_dwordx2 v[47:48], v52, s[16:17] offset:2048
	v_mul_u32_u24_e32 v0, 0x13c, v0
	s_movk_i32 s0, 0x68
	v_mul_lo_u16_sdwa v0, v0, s0 dst_sel:DWORD dst_unused:UNUSED_PAD src0_sel:WORD_1 src1_sel:DWORD
	s_waitcnt vmcnt(9) lgkmcnt(3)
	v_mul_f32_e32 v53, v8, v22
	v_mul_f32_e32 v58, v8, v21
	s_waitcnt vmcnt(8) lgkmcnt(2)
	v_mul_f32_e32 v8, v12, v25
	v_mul_f32_e32 v54, v12, v26
	;; [unrolled: 3-line block ×3, first 2 shown]
	s_waitcnt vmcnt(6) lgkmcnt(0)
	v_mul_f32_e32 v16, v34, v36
	v_fmac_f32_e32 v58, v7, v22
	v_fmac_f32_e32 v8, v11, v26
	v_fma_f32 v21, v7, v21, -v53
	v_fmac_f32_e32 v55, v15, v30
	v_fma_f32 v15, v15, v29, -v12
	v_fma_f32 v7, v33, v35, -v16
	v_sub_f32_e32 v53, v58, v8
	s_waitcnt vmcnt(4)
	v_mul_f32_e32 v8, v37, v40
	v_mul_f32_e32 v56, v33, v36
	;; [unrolled: 1-line block ×7, first 2 shown]
	v_sub_f32_e32 v16, v15, v7
	v_mul_f32_e32 v7, v38, v40
	v_fmac_f32_e32 v8, v38, v39
	v_mul_f32_e32 v57, v32, v14
	v_fma_f32 v14, v11, v25, -v54
	v_fmac_f32_e32 v51, v17, v24
	v_fma_f32 v30, v9, v27, -v52
	v_fma_f32 v11, v17, v23, -v18
	v_fmac_f32_e32 v36, v9, v28
	v_fmac_f32_e32 v10, v32, v13
	v_fma_f32 v7, v37, v39, -v7
	s_waitcnt vmcnt(3)
	v_mul_f32_e32 v9, v8, v42
	v_sub_f32_e32 v51, v20, v51
	v_sub_f32_e32 v54, v19, v11
	;; [unrolled: 1-line block ×3, first 2 shown]
	v_fma_f32 v18, v41, v7, -v9
	v_add_u32_e32 v9, 0x41, v6
	v_fma_f32 v24, v13, v31, -v57
	v_sub_f32_e32 v60, v54, v17
	v_mul_lo_u32 v13, v5, v9
	v_fma_f32 v63, v20, 2.0, -v51
	v_fma_f32 v17, v36, 2.0, -v17
	v_sub_f32_e32 v64, v63, v17
	v_add_u32_e32 v17, 52, v6
	v_fmac_f32_e32 v56, v34, v35
	v_sub_f32_e32 v29, v30, v24
	v_mul_lo_u32 v17, v5, v17
	v_sub_f32_e32 v52, v21, v14
	v_sub_f32_e32 v28, v55, v56
	v_add_f32_e32 v57, v51, v29
	v_sub_f32_e32 v56, v52, v28
	v_add_f32_e32 v59, v53, v16
	v_mov_b32_e32 v61, v57
	v_mov_b32_e32 v62, v60
	v_bfe_u32 v9, v13, 16, 8
	v_fmac_f32_e32 v61, 0x3f3504f3, v59
	v_fmac_f32_e32 v62, 0x3f3504f3, v56
	v_mul_f32_e32 v7, v7, v42
	v_lshl_or_b32 v14, v9, 3, v50
	v_lshlrev_b32_sdwa v22, v49, v13 dst_sel:DWORD dst_unused:UNUSED_PAD src0_sel:DWORD src1_sel:BYTE_0
	v_lshlrev_b32_sdwa v13, v49, v13 dst_sel:DWORD dst_unused:UNUSED_PAD src0_sel:DWORD src1_sel:BYTE_1
	v_fma_f32 v65, v21, 2.0, -v52
	v_fma_f32 v15, v15, 2.0, -v16
	v_fmac_f32_e32 v61, 0x3f3504f3, v56
	v_fmac_f32_e32 v62, 0xbf3504f3, v59
	;; [unrolled: 1-line block ×3, first 2 shown]
	global_load_dwordx2 v[9:10], v14, s[16:17]
	global_load_dwordx2 v[11:12], v22, s[16:17]
	v_sub_f32_e32 v66, v65, v15
	global_load_dwordx2 v[13:14], v13, s[16:17] offset:2048
	v_bfe_u32 v15, v17, 16, 8
	v_mul_f32_e32 v8, v62, v7
	v_mul_f32_e32 v7, v61, v7
	v_lshl_or_b32 v22, v15, 3, v50
	v_fmac_f32_e32 v8, v61, v18
	v_fma_f32 v7, v62, v18, -v7
	v_lshlrev_b32_sdwa v23, v49, v17 dst_sel:DWORD dst_unused:UNUSED_PAD src0_sel:DWORD src1_sel:BYTE_0
	v_lshlrev_b32_sdwa v24, v49, v17 dst_sel:DWORD dst_unused:UNUSED_PAD src0_sel:DWORD src1_sel:BYTE_1
	global_load_dwordx2 v[15:16], v22, s[16:17]
	global_load_dwordx2 v[17:18], v23, s[16:17]
	global_load_dwordx2 v[20:21], v24, s[16:17] offset:2048
	s_waitcnt vmcnt(6)
	v_mul_f32_e32 v22, v46, v48
	v_fma_f32 v31, v45, v47, -v22
	v_add_u32_e32 v22, 39, v6
	v_mul_lo_u32 v22, v5, v22
	v_mul_f32_e32 v34, v45, v48
	v_fmac_f32_e32 v34, v46, v47
	v_mul_f32_e32 v23, v34, v44
	v_fma_f32 v19, v19, 2.0, -v54
	v_fma_f32 v29, v30, 2.0, -v29
	v_fma_f32 v42, v43, v31, -v23
	v_bfe_u32 v23, v22, 16, 8
	v_sub_f32_e32 v48, v19, v29
	v_add_u32_e32 v29, 26, v6
	v_lshl_or_b32 v32, v23, 3, v50
	v_mul_lo_u32 v29, v5, v29
	v_lshlrev_b32_sdwa v33, v49, v22 dst_sel:DWORD dst_unused:UNUSED_PAD src0_sel:DWORD src1_sel:BYTE_0
	v_lshlrev_b32_sdwa v35, v49, v22 dst_sel:DWORD dst_unused:UNUSED_PAD src0_sel:DWORD src1_sel:BYTE_1
	global_load_dwordx2 v[22:23], v32, s[16:17]
	global_load_dwordx2 v[24:25], v33, s[16:17]
	global_load_dwordx2 v[26:27], v35, s[16:17] offset:2048
	v_fma_f32 v58, v58, 2.0, -v53
	v_fma_f32 v28, v55, 2.0, -v28
	v_lshlrev_b32_sdwa v33, v49, v29 dst_sel:DWORD dst_unused:UNUSED_PAD src0_sel:DWORD src1_sel:BYTE_0
	v_lshlrev_b32_sdwa v35, v49, v29 dst_sel:DWORD dst_unused:UNUSED_PAD src0_sel:DWORD src1_sel:BYTE_1
	v_sub_f32_e32 v55, v58, v28
	v_mul_f32_e32 v44, v31, v44
	v_bfe_u32 v32, v29, 16, 8
	global_load_dwordx2 v[28:29], v33, s[16:17]
	global_load_dwordx2 v[30:31], v35, s[16:17] offset:2048
	v_add_u32_e32 v35, 13, v6
	v_mul_lo_u32 v40, v5, v35
	v_lshl_or_b32 v32, v32, 3, v50
	global_load_dwordx2 v[32:33], v32, s[16:17]
	v_fmac_f32_e32 v44, v43, v34
	v_bfe_u32 v34, v40, 16, 8
	v_lshl_or_b32 v34, v34, 3, v50
	v_lshlrev_b32_sdwa v41, v49, v40 dst_sel:DWORD dst_unused:UNUSED_PAD src0_sel:DWORD src1_sel:BYTE_0
	global_load_dwordx2 v[36:37], v34, s[16:17]
	global_load_dwordx2 v[38:39], v41, s[16:17]
	v_lshlrev_b32_sdwa v34, v49, v40 dst_sel:DWORD dst_unused:UNUSED_PAD src0_sel:DWORD src1_sel:BYTE_1
	global_load_dwordx2 v[40:41], v34, s[16:17] offset:2048
	v_mul_lo_u32 v5, v5, v6
	v_add_f32_e32 v67, v64, v66
	v_sub_f32_e32 v68, v48, v55
	v_mul_f32_e32 v35, v68, v44
	v_mul_f32_e32 v34, v67, v44
	v_fmac_f32_e32 v35, v67, v42
	v_fma_f32 v34, v68, v42, -v34
	v_bfe_u32 v42, v5, 16, 8
	v_lshl_or_b32 v50, v42, 3, v50
	v_fma_f32 v53, v53, 2.0, -v59
	v_lshlrev_b32_sdwa v59, v49, v5 dst_sel:DWORD dst_unused:UNUSED_PAD src0_sel:DWORD src1_sel:BYTE_0
	v_lshlrev_b32_sdwa v5, v49, v5 dst_sel:DWORD dst_unused:UNUSED_PAD src0_sel:DWORD src1_sel:BYTE_1
	global_load_dwordx2 v[42:43], v50, s[16:17]
	global_load_dwordx2 v[44:45], v59, s[16:17]
	global_load_dwordx2 v[46:47], v5, s[16:17] offset:2048
	v_fma_f32 v51, v51, 2.0, -v57
	v_fma_f32 v49, v54, 2.0, -v60
	;; [unrolled: 1-line block ×3, first 2 shown]
	v_mov_b32_e32 v56, v51
	v_mov_b32_e32 v50, v49
	v_fmac_f32_e32 v56, 0xbf3504f3, v53
	v_fmac_f32_e32 v50, 0xbf3504f3, v52
	;; [unrolled: 1-line block ×4, first 2 shown]
	v_fma_f32 v19, v19, 2.0, -v48
	s_waitcnt vmcnt(15)
	v_mul_f32_e32 v5, v12, v14
	v_fma_f32 v5, v11, v13, -v5
	v_mul_f32_e32 v11, v11, v14
	v_fmac_f32_e32 v11, v12, v13
	v_mul_f32_e32 v12, v11, v10
	v_fma_f32 v12, v9, v5, -v12
	v_mul_f32_e32 v5, v5, v10
	v_fmac_f32_e32 v5, v9, v11
	v_mul_f32_e32 v10, v50, v5
	v_mul_f32_e32 v5, v56, v5
	v_fmac_f32_e32 v10, v56, v12
	v_fma_f32 v9, v50, v12, -v5
	v_fma_f32 v5, v63, 2.0, -v64
	v_fma_f32 v11, v58, 2.0, -v55
	s_waitcnt vmcnt(12)
	v_mul_f32_e32 v12, v17, v21
	v_sub_f32_e32 v52, v5, v11
	v_mul_f32_e32 v11, v18, v21
	v_fmac_f32_e32 v12, v18, v20
	v_fma_f32 v11, v17, v20, -v11
	v_mul_f32_e32 v13, v12, v16
	v_fma_f32 v14, v65, 2.0, -v66
	v_fma_f32 v13, v15, v11, -v13
	v_sub_f32_e32 v20, v19, v14
	v_mul_f32_e32 v11, v11, v16
	v_fmac_f32_e32 v11, v15, v12
	v_mul_f32_e32 v12, v20, v11
	v_mul_f32_e32 v11, v52, v11
	s_waitcnt vmcnt(9)
	v_mul_f32_e32 v14, v25, v27
	v_fma_f32 v14, v24, v26, -v14
	v_mul_f32_e32 v15, v24, v27
	v_fmac_f32_e32 v15, v25, v26
	v_mul_f32_e32 v18, v14, v23
	v_mul_f32_e32 v16, v15, v23
	v_fma_f32 v17, v60, 2.0, -v62
	v_fmac_f32_e32 v18, v22, v15
	v_fmac_f32_e32 v12, v52, v13
	v_fma_f32 v11, v20, v13, -v11
	v_fma_f32 v13, v57, 2.0, -v61
	v_fma_f32 v16, v22, v14, -v16
	v_mul_f32_e32 v14, v17, v18
	v_fmac_f32_e32 v14, v13, v16
	v_mul_f32_e32 v13, v13, v18
	v_fma_f32 v13, v17, v16, -v13
	s_waitcnt vmcnt(7)
	v_mul_f32_e32 v16, v29, v31
	v_fma_f32 v16, v28, v30, -v16
	v_mul_f32_e32 v17, v28, v31
	v_fmac_f32_e32 v17, v29, v30
	s_waitcnt vmcnt(6)
	v_mul_f32_e32 v22, v16, v33
	v_mul_f32_e32 v18, v17, v33
	v_fma_f32 v21, v48, 2.0, -v68
	v_fmac_f32_e32 v22, v32, v17
	v_fma_f32 v15, v64, 2.0, -v67
	v_fma_f32 v18, v32, v16, -v18
	v_mul_f32_e32 v16, v21, v22
	v_fmac_f32_e32 v16, v15, v18
	v_mul_f32_e32 v15, v15, v22
	v_fma_f32 v15, v21, v18, -v15
	s_waitcnt vmcnt(3)
	v_mul_f32_e32 v18, v39, v41
	v_fma_f32 v18, v38, v40, -v18
	v_mul_f32_e32 v21, v38, v41
	v_fmac_f32_e32 v21, v39, v40
	v_mul_f32_e32 v24, v18, v37
	v_mul_f32_e32 v22, v21, v37
	v_fma_f32 v23, v49, 2.0, -v50
	v_fmac_f32_e32 v24, v36, v21
	v_fma_f32 v17, v51, 2.0, -v56
	v_fma_f32 v22, v36, v18, -v22
	v_mul_f32_e32 v18, v23, v24
	v_fmac_f32_e32 v18, v17, v22
	v_mul_f32_e32 v17, v17, v24
	v_fma_f32 v17, v23, v22, -v17
	s_waitcnt vmcnt(0)
	v_mul_f32_e32 v22, v44, v47
	v_fma_f32 v23, v5, 2.0, -v52
	v_mul_f32_e32 v5, v45, v47
	v_fmac_f32_e32 v22, v45, v46
	v_fma_f32 v21, v44, v46, -v5
	v_mul_f32_e32 v5, v22, v43
	v_add_u32_e32 v25, v0, v6
	v_fma_f32 v24, v42, v21, -v5
	v_mad_u64_u32 v[5:6], s[0:1], s8, v25, 0
	v_mul_f32_e32 v26, v21, v43
	v_fmac_f32_e32 v26, v42, v22
	v_mov_b32_e32 v0, v6
	v_mad_u64_u32 v[21:22], s[0:1], s9, v25, v[0:1]
	v_fma_f32 v19, v19, 2.0, -v20
	v_mul_f32_e32 v0, v23, v26
	v_mul_f32_e32 v20, v19, v26
	v_fma_f32 v19, v19, v24, -v0
	v_lshlrev_b64 v[0:1], 3, v[1:2]
	v_mov_b32_e32 v6, v21
	v_mov_b32_e32 v2, s13
	v_add_co_u32_e32 v21, vcc, s12, v0
	v_addc_co_u32_e32 v22, vcc, v2, v1, vcc
	v_lshlrev_b64 v[0:1], 3, v[3:4]
	v_add_u32_e32 v4, 13, v25
	v_mad_u64_u32 v[2:3], s[0:1], s8, v4, 0
	v_add_co_u32_e32 v21, vcc, v21, v0
	v_addc_co_u32_e32 v22, vcc, v22, v1, vcc
	v_lshlrev_b64 v[0:1], 3, v[5:6]
	v_mad_u64_u32 v[3:4], s[0:1], s9, v4, v[3:4]
	v_add_co_u32_e32 v0, vcc, v21, v0
	v_fmac_f32_e32 v20, v23, v24
	v_addc_co_u32_e32 v1, vcc, v22, v1, vcc
	v_add_u32_e32 v4, 26, v25
	global_store_dwordx2 v[0:1], v[19:20], off
	v_lshlrev_b64 v[0:1], 3, v[2:3]
	v_mad_u64_u32 v[2:3], s[0:1], s8, v4, 0
	v_add_u32_e32 v6, 39, v25
	v_add_co_u32_e32 v0, vcc, v21, v0
	v_mad_u64_u32 v[3:4], s[0:1], s9, v4, v[3:4]
	v_mad_u64_u32 v[4:5], s[0:1], s8, v6, 0
	v_addc_co_u32_e32 v1, vcc, v22, v1, vcc
	global_store_dwordx2 v[0:1], v[17:18], off
	v_lshlrev_b64 v[0:1], 3, v[2:3]
	v_mov_b32_e32 v2, v5
	v_mad_u64_u32 v[2:3], s[0:1], s9, v6, v[2:3]
	v_add_co_u32_e32 v0, vcc, v21, v0
	v_addc_co_u32_e32 v1, vcc, v22, v1, vcc
	v_mov_b32_e32 v5, v2
	global_store_dwordx2 v[0:1], v[15:16], off
	v_lshlrev_b64 v[0:1], 3, v[4:5]
	v_add_u32_e32 v4, 52, v25
	v_mad_u64_u32 v[2:3], s[0:1], s8, v4, 0
	v_add_u32_e32 v6, 0x41, v25
	v_add_co_u32_e32 v0, vcc, v21, v0
	v_mad_u64_u32 v[3:4], s[0:1], s9, v4, v[3:4]
	v_mad_u64_u32 v[4:5], s[0:1], s8, v6, 0
	v_addc_co_u32_e32 v1, vcc, v22, v1, vcc
	global_store_dwordx2 v[0:1], v[13:14], off
	v_lshlrev_b64 v[0:1], 3, v[2:3]
	v_mov_b32_e32 v2, v5
	v_mad_u64_u32 v[2:3], s[0:1], s9, v6, v[2:3]
	v_add_co_u32_e32 v0, vcc, v21, v0
	v_addc_co_u32_e32 v1, vcc, v22, v1, vcc
	v_mov_b32_e32 v5, v2
	global_store_dwordx2 v[0:1], v[11:12], off
	v_lshlrev_b64 v[0:1], 3, v[4:5]
	v_add_u32_e32 v4, 0x4e, v25
	v_mad_u64_u32 v[2:3], s[0:1], s8, v4, 0
	v_add_u32_e32 v6, 0x5b, v25
	v_add_co_u32_e32 v0, vcc, v21, v0
	v_mad_u64_u32 v[3:4], s[0:1], s9, v4, v[3:4]
	v_mad_u64_u32 v[4:5], s[0:1], s8, v6, 0
	v_addc_co_u32_e32 v1, vcc, v22, v1, vcc
	global_store_dwordx2 v[0:1], v[9:10], off
	v_lshlrev_b64 v[0:1], 3, v[2:3]
	v_mov_b32_e32 v2, v5
	v_mad_u64_u32 v[2:3], s[0:1], s9, v6, v[2:3]
	v_add_co_u32_e32 v0, vcc, v21, v0
	v_addc_co_u32_e32 v1, vcc, v22, v1, vcc
	v_mov_b32_e32 v5, v2
	global_store_dwordx2 v[0:1], v[34:35], off
	v_lshlrev_b64 v[0:1], 3, v[4:5]
	v_add_co_u32_e32 v0, vcc, v21, v0
	v_addc_co_u32_e32 v1, vcc, v22, v1, vcc
	global_store_dwordx2 v[0:1], v[7:8], off
.LBB0_15:
	s_endpgm
	.section	.rodata,"a",@progbits
	.p2align	6, 0x0
	.amdhsa_kernel fft_rtc_fwd_len104_factors_13_8_wgs_208_tpt_13_sp_ip_CI_sbcc_twdbase8_3step_dirReg_intrinsicRead
		.amdhsa_group_segment_fixed_size 0
		.amdhsa_private_segment_fixed_size 0
		.amdhsa_kernarg_size 96
		.amdhsa_user_sgpr_count 6
		.amdhsa_user_sgpr_private_segment_buffer 1
		.amdhsa_user_sgpr_dispatch_ptr 0
		.amdhsa_user_sgpr_queue_ptr 0
		.amdhsa_user_sgpr_kernarg_segment_ptr 1
		.amdhsa_user_sgpr_dispatch_id 0
		.amdhsa_user_sgpr_flat_scratch_init 0
		.amdhsa_user_sgpr_private_segment_size 0
		.amdhsa_uses_dynamic_stack 0
		.amdhsa_system_sgpr_private_segment_wavefront_offset 0
		.amdhsa_system_sgpr_workgroup_id_x 1
		.amdhsa_system_sgpr_workgroup_id_y 0
		.amdhsa_system_sgpr_workgroup_id_z 0
		.amdhsa_system_sgpr_workgroup_info 0
		.amdhsa_system_vgpr_workitem_id 0
		.amdhsa_next_free_vgpr 118
		.amdhsa_next_free_sgpr 43
		.amdhsa_reserve_vcc 1
		.amdhsa_reserve_flat_scratch 0
		.amdhsa_float_round_mode_32 0
		.amdhsa_float_round_mode_16_64 0
		.amdhsa_float_denorm_mode_32 3
		.amdhsa_float_denorm_mode_16_64 3
		.amdhsa_dx10_clamp 1
		.amdhsa_ieee_mode 1
		.amdhsa_fp16_overflow 0
		.amdhsa_exception_fp_ieee_invalid_op 0
		.amdhsa_exception_fp_denorm_src 0
		.amdhsa_exception_fp_ieee_div_zero 0
		.amdhsa_exception_fp_ieee_overflow 0
		.amdhsa_exception_fp_ieee_underflow 0
		.amdhsa_exception_fp_ieee_inexact 0
		.amdhsa_exception_int_div_zero 0
	.end_amdhsa_kernel
	.text
.Lfunc_end0:
	.size	fft_rtc_fwd_len104_factors_13_8_wgs_208_tpt_13_sp_ip_CI_sbcc_twdbase8_3step_dirReg_intrinsicRead, .Lfunc_end0-fft_rtc_fwd_len104_factors_13_8_wgs_208_tpt_13_sp_ip_CI_sbcc_twdbase8_3step_dirReg_intrinsicRead
                                        ; -- End function
	.section	.AMDGPU.csdata,"",@progbits
; Kernel info:
; codeLenInByte = 6884
; NumSgprs: 47
; NumVgprs: 118
; ScratchSize: 0
; MemoryBound: 0
; FloatMode: 240
; IeeeMode: 1
; LDSByteSize: 0 bytes/workgroup (compile time only)
; SGPRBlocks: 5
; VGPRBlocks: 29
; NumSGPRsForWavesPerEU: 47
; NumVGPRsForWavesPerEU: 118
; Occupancy: 2
; WaveLimiterHint : 1
; COMPUTE_PGM_RSRC2:SCRATCH_EN: 0
; COMPUTE_PGM_RSRC2:USER_SGPR: 6
; COMPUTE_PGM_RSRC2:TRAP_HANDLER: 0
; COMPUTE_PGM_RSRC2:TGID_X_EN: 1
; COMPUTE_PGM_RSRC2:TGID_Y_EN: 0
; COMPUTE_PGM_RSRC2:TGID_Z_EN: 0
; COMPUTE_PGM_RSRC2:TIDIG_COMP_CNT: 0
	.type	__hip_cuid_383b685d7e5f86eb,@object ; @__hip_cuid_383b685d7e5f86eb
	.section	.bss,"aw",@nobits
	.globl	__hip_cuid_383b685d7e5f86eb
__hip_cuid_383b685d7e5f86eb:
	.byte	0                               ; 0x0
	.size	__hip_cuid_383b685d7e5f86eb, 1

	.ident	"AMD clang version 19.0.0git (https://github.com/RadeonOpenCompute/llvm-project roc-6.4.0 25133 c7fe45cf4b819c5991fe208aaa96edf142730f1d)"
	.section	".note.GNU-stack","",@progbits
	.addrsig
	.addrsig_sym __hip_cuid_383b685d7e5f86eb
	.amdgpu_metadata
---
amdhsa.kernels:
  - .args:
      - .actual_access:  read_only
        .address_space:  global
        .offset:         0
        .size:           8
        .value_kind:     global_buffer
      - .address_space:  global
        .offset:         8
        .size:           8
        .value_kind:     global_buffer
      - .offset:         16
        .size:           8
        .value_kind:     by_value
      - .actual_access:  read_only
        .address_space:  global
        .offset:         24
        .size:           8
        .value_kind:     global_buffer
      - .actual_access:  read_only
        .address_space:  global
        .offset:         32
        .size:           8
        .value_kind:     global_buffer
      - .offset:         40
        .size:           8
        .value_kind:     by_value
      - .actual_access:  read_only
        .address_space:  global
        .offset:         48
        .size:           8
        .value_kind:     global_buffer
      - .actual_access:  read_only
        .address_space:  global
        .offset:         56
        .size:           8
        .value_kind:     global_buffer
      - .offset:         64
        .size:           4
        .value_kind:     by_value
      - .actual_access:  read_only
        .address_space:  global
        .offset:         72
        .size:           8
        .value_kind:     global_buffer
      - .actual_access:  read_only
        .address_space:  global
        .offset:         80
        .size:           8
        .value_kind:     global_buffer
      - .address_space:  global
        .offset:         88
        .size:           8
        .value_kind:     global_buffer
    .group_segment_fixed_size: 0
    .kernarg_segment_align: 8
    .kernarg_segment_size: 96
    .language:       OpenCL C
    .language_version:
      - 2
      - 0
    .max_flat_workgroup_size: 208
    .name:           fft_rtc_fwd_len104_factors_13_8_wgs_208_tpt_13_sp_ip_CI_sbcc_twdbase8_3step_dirReg_intrinsicRead
    .private_segment_fixed_size: 0
    .sgpr_count:     47
    .sgpr_spill_count: 0
    .symbol:         fft_rtc_fwd_len104_factors_13_8_wgs_208_tpt_13_sp_ip_CI_sbcc_twdbase8_3step_dirReg_intrinsicRead.kd
    .uniform_work_group_size: 1
    .uses_dynamic_stack: false
    .vgpr_count:     118
    .vgpr_spill_count: 0
    .wavefront_size: 64
amdhsa.target:   amdgcn-amd-amdhsa--gfx906
amdhsa.version:
  - 1
  - 2
...

	.end_amdgpu_metadata
